;; amdgpu-corpus repo=zjin-lcf/HeCBench kind=compiled arch=gfx90a opt=O3
	.text
	.amdgcn_target "amdgcn-amd-amdhsa--gfx90a"
	.amdhsa_code_object_version 6
	.protected	_Z8svd3_SOAPKfPfi       ; -- Begin function _Z8svd3_SOAPKfPfi
	.globl	_Z8svd3_SOAPKfPfi
	.p2align	8
	.type	_Z8svd3_SOAPKfPfi,@function
_Z8svd3_SOAPKfPfi:                      ; @_Z8svd3_SOAPKfPfi
; %bb.0:
	s_load_dword s0, s[4:5], 0x24
	s_load_dword s8, s[4:5], 0x10
	s_waitcnt lgkmcnt(0)
	s_and_b32 s0, s0, 0xffff
	s_mul_i32 s6, s6, s0
	v_add_u32_e32 v0, s6, v0
	v_cmp_gt_i32_e32 vcc, s8, v0
	s_and_saveexec_b64 s[0:1], vcc
	s_cbranch_execz .LBB0_4
; %bb.1:
	s_load_dwordx4 s[0:3], s[4:5], 0x0
	v_ashrrev_i32_e32 v1, 31, v0
	v_lshlrev_b64 v[8:9], 2, v[0:1]
	s_ashr_i32 s9, s8, 31
	s_lshl_b64 s[4:5], s[8:9], 2
	s_waitcnt lgkmcnt(0)
	v_mov_b32_e32 v1, s1
	v_add_co_u32_e32 v6, vcc, s0, v8
	v_addc_co_u32_e32 v7, vcc, v1, v9, vcc
	v_add_u32_e32 v0, s8, v0
	v_mov_b32_e32 v2, s5
	v_add_co_u32_e32 v14, vcc, s4, v6
	v_addc_co_u32_e32 v15, vcc, v7, v2, vcc
	v_add_u32_e32 v2, s8, v0
	v_ashrrev_i32_e32 v3, 31, v2
	v_lshlrev_b64 v[10:11], 2, v[2:3]
	v_add_u32_e32 v4, s8, v2
	v_add_co_u32_e32 v16, vcc, s0, v10
	v_ashrrev_i32_e32 v5, 31, v4
	v_addc_co_u32_e32 v17, vcc, v1, v11, vcc
	v_lshlrev_b64 v[2:3], 2, v[4:5]
	v_add_u32_e32 v4, s8, v4
	v_add_co_u32_e32 v18, vcc, s0, v2
	v_ashrrev_i32_e32 v5, 31, v4
	v_addc_co_u32_e32 v19, vcc, v1, v3, vcc
	;; [unrolled: 5-line block ×3, first 2 shown]
	v_lshlrev_b64 v[4:5], 2, v[22:23]
	v_add_co_u32_e32 v24, vcc, s0, v4
	v_addc_co_u32_e32 v25, vcc, v1, v5, vcc
	global_load_dword v44, v[6:7], off
	global_load_dword v47, v[14:15], off
	;; [unrolled: 1-line block ×6, first 2 shown]
	v_add_u32_e32 v6, s8, v22
	v_ashrrev_i32_e32 v7, 31, v6
	v_lshlrev_b64 v[14:15], 2, v[6:7]
	v_add_u32_e32 v18, s8, v6
	v_add_co_u32_e32 v16, vcc, s0, v14
	v_ashrrev_i32_e32 v19, 31, v18
	v_addc_co_u32_e32 v17, vcc, v1, v15, vcc
	v_lshlrev_b64 v[6:7], 2, v[18:19]
	v_add_u32_e32 v18, s8, v18
	v_add_co_u32_e32 v20, vcc, s0, v6
	v_ashrrev_i32_e32 v19, 31, v18
	v_addc_co_u32_e32 v21, vcc, v1, v7, vcc
	global_load_dword v48, v[16:17], off
	global_load_dword v51, v[20:21], off
	v_lshlrev_b64 v[16:17], 2, v[18:19]
	v_add_co_u32_e32 v20, vcc, s0, v16
	v_addc_co_u32_e32 v21, vcc, v1, v17, vcc
	global_load_dword v54, v[20:21], off
	s_mov_b32 s4, 4
	v_mov_b32_e32 v29, 0
	v_mov_b32_e32 v25, 1.0
	s_mov_b32 s5, 0x1e3ce508
	s_mov_b32 s6, 0xf800000
	v_mov_b32_e32 v1, 0x260
	v_mov_b32_e32 v19, 0x3ec3ef15
	;; [unrolled: 1-line block ×4, first 2 shown]
	s_waitcnt vmcnt(8)
	v_mov_b32_e32 v45, v44
	v_mov_b32_e32 v46, v44
	s_waitcnt vmcnt(4)
	v_pk_mul_f32 v[22:23], v[52:53], v[52:53] op_sel_hi:[0,1]
	s_waitcnt vmcnt(3)
	v_mul_f32_e32 v30, v52, v40
	v_mul_f32_e32 v28, v53, v53
	v_mul_f32_e32 v21, v53, v40
	v_mul_f32_e32 v31, v40, v40
	v_pk_fma_f32 v[22:23], v[44:45], v[46:47], v[22:23] op_sel_hi:[0,1,1]
	v_fmac_f32_e32 v30, v44, v42
	v_fmac_f32_e32 v28, v47, v47
	;; [unrolled: 1-line block ×4, first 2 shown]
	s_waitcnt vmcnt(2)
	v_mov_b32_e32 v49, v48
	v_mov_b32_e32 v50, v48
	s_waitcnt vmcnt(1)
	v_pk_fma_f32 v[26:27], v[48:49], v[50:51], v[22:23] op_sel_hi:[0,1,1]
	v_fmac_f32_e32 v28, v51, v51
	v_mov_b32_e32 v22, 0
	s_waitcnt vmcnt(0)
	v_fmac_f32_e32 v30, v48, v54
	v_fmac_f32_e32 v21, v51, v54
	;; [unrolled: 1-line block ×3, first 2 shown]
.LBB0_2:                                ; =>This Inner Loop Header: Depth=1
	v_mul_f32_e32 v24, 0.5, v27
	v_mul_f32_e32 v32, v24, v24
	v_sub_f32_e32 v23, v26, v28
	v_cmp_nle_f32_e32 vcc, s5, v32
	v_cndmask_b32_e64 v32, v23, 1.0, vcc
	v_cndmask_b32_e64 v24, v24, 0, vcc
	v_mul_f32_e32 v33, v32, v32
	v_fma_f32 v35, v24, v24, v33
	v_mul_f32_e32 v36, 0x4f800000, v35
	v_cmp_gt_f32_e32 vcc, s6, v35
	v_cndmask_b32_e32 v35, v35, v36, vcc
	v_sqrt_f32_e32 v36, v35
	v_add_f32_e32 v56, v27, v27
	s_add_i32 s4, s4, -1
	s_cmp_lg_u32 s4, 0
	v_add_u32_e32 v37, -1, v36
	v_fma_f32 v38, -v37, v36, v35
	v_cmp_ge_f32_e64 s[0:1], 0, v38
	v_add_u32_e32 v38, 1, v36
	v_cndmask_b32_e64 v37, v36, v37, s[0:1]
	v_fma_f32 v36, -v38, v36, v35
	v_cmp_lt_f32_e64 s[0:1], 0, v36
	v_cndmask_b32_e64 v36, v37, v38, s[0:1]
	v_mul_f32_e32 v37, 0x37800000, v36
	v_cndmask_b32_e32 v36, v36, v37, vcc
	v_cmp_class_f32_e32 vcc, v35, v1
	v_cndmask_b32_e32 v35, v36, v35, vcc
	v_div_scale_f32 v36, s[0:1], v35, v35, 1.0
	v_rcp_f32_e32 v37, v36
	v_mul_f32_e32 v38, v24, v24
	v_fma_f32 v39, -v36, v37, 1.0
	v_fmac_f32_e32 v37, v39, v37
	v_div_scale_f32 v39, vcc, 1.0, v35, 1.0
	v_mul_f32_e32 v41, v39, v37
	v_fma_f32 v43, -v36, v41, v39
	v_fmac_f32_e32 v41, v43, v37
	v_fma_f32 v36, -v36, v41, v39
	v_div_fmas_f32 v36, v36, v37, v41
	v_div_fixup_f32 v35, v36, v35, 1.0
	v_mul_f32_e32 v24, v24, v35
	v_mul_f32_e32 v32, v32, v35
	;; [unrolled: 1-line block ×3, first 2 shown]
	v_cmp_nle_f32_e32 vcc, v33, v35
	v_cndmask_b32_e32 v37, v34, v32, vcc
	v_cndmask_b32_e32 v33, v19, v24, vcc
	v_mul_f32_e32 v39, v37, v37
	v_fma_f32 v36, -v33, v33, v39
	v_mul_f32_e32 v32, v29, v33
	v_mul_f32_e32 v24, v20, v33
	v_fma_f32 v43, v25, v37, -v32
	v_mov_b32_e32 v32, v36
	v_mul_f32_e32 v41, v25, v33
	v_fma_f32 v46, v22, v37, -v24
	v_pk_mul_f32 v[24:25], v[36:37], v[32:33]
	v_fmac_f32_e32 v41, v29, v37
	v_mov_b32_e32 v29, v25
	v_fmac_f32_e32 v39, v33, v33
	v_mul_f32_e32 v35, v22, v33
	v_pk_fma_f32 v[32:33], v[36:37], v[32:33], v[28:29]
	v_mul_f32_e32 v57, v30, v39
	v_fmac_f32_e32 v35, v20, v37
	v_mul_f32_e32 v38, v33, v33
	v_mov_b32_e32 v20, v26
	v_mul_f32_e32 v22, v33, v57
	v_pk_mul_f32 v[60:61], v[20:21], v[38:39]
	v_mul_f32_e32 v20, v26, v24
	v_pk_mul_f32 v[58:59], v[28:29], v[24:25]
	v_fma_f32 v21, v36, v61, -v22
	v_fmac_f32_e32 v20, v28, v38
	v_pk_mul_f32 v[62:63], v[32:33], v[60:61]
	v_pk_fma_f32 v[28:29], v[28:29], v[24:25], v[60:61]
	v_mov_b32_e32 v29, v63
	v_mul_f32_e32 v62, v36, v33
	v_mov_b32_e32 v63, v36
	v_mul_f32_e32 v22, 0.5, v21
	v_mul_f32_e32 v31, v31, v39
	v_pk_fma_f32 v[28:29], v[62:63], v[56:57], v[28:29] neg_lo:[1,0,0] neg_hi:[1,0,0]
	v_mul_f32_e32 v26, v22, v22
	v_fma_f32 v25, -v39, v31, v28
	v_cmp_nle_f32_e32 vcc, s5, v26
	v_cndmask_b32_e64 v26, v25, 1.0, vcc
	v_mul_f32_e32 v30, v39, v31
	v_cndmask_b32_e64 v22, v22, 0, vcc
	v_mul_f32_e32 v31, v26, v26
	v_fma_f32 v29, v22, v22, v31
	v_mul_f32_e32 v36, 0x4f800000, v29
	v_cmp_gt_f32_e32 vcc, s6, v29
	v_cndmask_b32_e32 v50, v29, v36, vcc
	v_sqrt_f32_e32 v55, v50
	v_mov_b32_e32 v59, v33
	v_mov_b32_e32 v29, v24
	v_pk_fma_f32 v[36:37], v[58:59], v[58:59], v[28:29] neg_lo:[1,0,0] neg_hi:[1,0,0]
	v_add_u32_e32 v24, -1, v55
	v_fma_f32 v29, -v24, v55, v50
	v_cmp_ge_f32_e64 s[0:1], 0, v29
	v_add_u32_e32 v29, 1, v55
	v_fma_f32 v36, -v29, v55, v50
	v_cndmask_b32_e64 v24, v55, v24, s[0:1]
	v_cmp_lt_f32_e64 s[0:1], 0, v36
	v_cndmask_b32_e64 v24, v24, v29, s[0:1]
	v_mul_f32_e32 v29, 0x37800000, v24
	v_cndmask_b32_e32 v24, v24, v29, vcc
	v_cmp_class_f32_e32 vcc, v50, v1
	v_cndmask_b32_e32 v24, v24, v50, vcc
	v_div_scale_f32 v36, s[0:1], v24, v24, 1.0
	v_rcp_f32_e32 v50, v36
	v_pk_mul_f32 v[38:39], v[62:63], v[56:57]
	v_pk_fma_f32 v[32:33], v[32:33], v[60:61], v[38:39]
	v_mov_b32_e32 v29, v33
	v_fma_f32 v33, -v36, v50, 1.0
	v_fmac_f32_e32 v50, v33, v50
	v_div_scale_f32 v33, vcc, 1.0, v24, 1.0
	v_mul_f32_e32 v39, v33, v50
	v_fma_f32 v55, -v36, v39, v33
	v_fmac_f32_e32 v39, v55, v50
	v_fma_f32 v33, -v36, v39, v33
	v_div_fmas_f32 v33, v33, v50, v39
	v_mul_f32_e32 v32, v22, v22
	v_div_fixup_f32 v24, v33, v24, 1.0
	v_mul_f32_e32 v22, v22, v24
	v_mul_f32_e32 v24, v26, v24
	;; [unrolled: 1-line block ×3, first 2 shown]
	v_cmp_nle_f32_e32 vcc, v31, v26
	v_cndmask_b32_e32 v22, v19, v22, vcc
	v_cndmask_b32_e32 v26, v34, v24, vcc
	v_mov_b32_e32 v32, v22
	v_mov_b32_e32 v33, v62
	v_pk_mul_f32 v[32:33], v[22:23], v[32:33]
	v_mov_b32_e32 v36, v26
	v_pk_mul_f32 v[56:57], v[26:27], v[36:37]
	v_pk_fma_f32 v[36:37], v[26:27], v[36:37], v[32:33] neg_lo:[0,0,1] neg_hi:[0,0,1]
	v_mov_b32_e32 v58, v36
	v_mov_b32_e32 v59, v26
	v_mov_b32_e32 v60, v36
	v_mov_b32_e32 v61, v22
	v_pk_mul_f32 v[62:63], v[58:59], v[60:61]
	v_mov_b32_e32 v31, v63
	v_mov_b32_e32 v33, v38
	;; [unrolled: 1-line block ×3, first 2 shown]
	v_pk_fma_f32 v[58:59], v[58:59], v[60:61], v[30:31]
	v_pk_mul_f32 v[60:61], v[30:31], v[62:63]
	v_pk_add_f32 v[38:39], v[32:33], v[56:57]
	v_mov_b32_e32 v61, v59
	v_mov_b32_e32 v64, v59
	;; [unrolled: 1-line block ×3, first 2 shown]
	v_pk_mul_f32 v[68:69], v[60:61], v[60:61]
	v_pk_mul_f32 v[64:65], v[36:37], v[64:65]
	v_mov_b32_e32 v70, v69
	v_mov_b32_e32 v71, v38
	;; [unrolled: 1-line block ×3, first 2 shown]
	v_pk_mul_f32 v[66:67], v[58:59], v[64:65]
	v_pk_mul_f32 v[70:71], v[28:29], v[70:71]
	;; [unrolled: 1-line block ×3, first 2 shown]
	v_mov_b32_e32 v20, v71
	v_mov_b32_e32 v24, v67
	v_pk_fma_f32 v[66:67], v[36:37], v[20:21], v[24:25] neg_lo:[0,0,1] neg_hi:[0,0,1]
	v_mul_f32_e32 v28, v28, v62
	v_fmac_f32_e32 v28, v30, v69
	v_pk_fma_f32 v[30:31], v[30:31], v[62:63], v[70:71]
	v_mov_b32_e32 v23, v62
	v_add_f32_e32 v62, v21, v21
	v_mov_b32_e32 v63, v36
	v_mul_f32_e32 v24, 0.5, v66
	v_pk_fma_f32 v[30:31], v[62:63], v[64:65], v[30:31] neg_lo:[1,0,0] neg_hi:[1,0,0]
	v_mul_f32_e32 v27, v24, v24
	v_pk_mul_f32 v[32:33], v[38:39], v[56:57]
	v_pk_fma_f32 v[38:39], v[38:39], v[56:57], v[30:31] neg_lo:[1,0,0] neg_hi:[1,0,0]
	v_cmp_nle_f32_e32 vcc, s5, v27
	v_cndmask_b32_e64 v27, v38, 1.0, vcc
	v_cndmask_b32_e64 v24, v24, 0, vcc
	v_mul_f32_e32 v29, v27, v27
	v_pk_mul_f32 v[36:37], v[62:63], v[64:65]
	v_fma_f32 v31, v24, v24, v29
	v_pk_fma_f32 v[58:59], v[58:59], v[70:71], v[36:37]
	v_mul_f32_e32 v37, 0x4f800000, v31
	v_cmp_gt_f32_e32 vcc, s6, v31
	v_cndmask_b32_e32 v31, v31, v37, vcc
	v_sqrt_f32_e32 v37, v31
	v_mul_f32_e32 v20, v35, v22
	v_mul_f32_e32 v39, v43, v22
	v_fmac_f32_e32 v39, v35, v26
	v_fma_f32 v35, v43, v26, -v20
	v_add_u32_e32 v20, -1, v37
	v_pk_fma_f32 v[60:61], v[60:61], v[60:61], v[22:23] neg_lo:[1,0,0] neg_hi:[1,0,0]
	v_mul_f32_e32 v23, v46, v22
	v_mul_f32_e32 v50, v41, v22
	v_fma_f32 v22, -v20, v37, v31
	v_cmp_ge_f32_e64 s[0:1], 0, v22
	v_add_u32_e32 v22, 1, v37
	v_cndmask_b32_e64 v20, v37, v20, s[0:1]
	v_fma_f32 v37, -v22, v37, v31
	v_cmp_lt_f32_e64 s[0:1], 0, v37
	v_cndmask_b32_e64 v20, v20, v22, s[0:1]
	v_mul_f32_e32 v22, 0x37800000, v20
	v_cndmask_b32_e32 v20, v20, v22, vcc
	v_cmp_class_f32_e32 vcc, v31, v1
	v_cndmask_b32_e32 v20, v20, v31, vcc
	v_div_scale_f32 v22, s[0:1], v20, v20, 1.0
	v_rcp_f32_e32 v31, v22
	v_fmac_f32_e32 v50, v46, v26
	v_fma_f32 v41, v41, v26, -v23
	v_mul_f32_e32 v23, v24, v24
	v_fma_f32 v26, -v22, v31, 1.0
	v_fmac_f32_e32 v31, v26, v31
	v_div_scale_f32 v26, vcc, 1.0, v20, 1.0
	v_mul_f32_e32 v37, v26, v31
	v_fma_f32 v43, -v22, v37, v26
	v_fmac_f32_e32 v37, v43, v31
	v_fma_f32 v22, -v22, v37, v26
	v_div_fmas_f32 v22, v22, v31, v37
	v_div_fixup_f32 v20, v22, v20, 1.0
	v_mul_f32_e32 v23, 0x40ba827a, v23
	v_mul_f32_e32 v22, v24, v20
	;; [unrolled: 1-line block ×3, first 2 shown]
	v_cmp_nle_f32_e32 vcc, v29, v23
	v_cndmask_b32_e32 v24, v19, v22, vcc
	v_cndmask_b32_e32 v20, v34, v20, vcc
	v_mov_b32_e32 v22, v24
	v_mov_b32_e32 v23, v64
	;; [unrolled: 1-line block ×3, first 2 shown]
	v_pk_mul_f32 v[22:23], v[24:25], v[22:23]
	v_pk_mul_f32 v[26:27], v[20:21], v[60:61]
	v_mul_f32_e32 v67, v20, v24
	v_pk_fma_f32 v[56:57], v[20:21], v[60:61], v[22:23] neg_lo:[0,0,1] neg_hi:[0,0,1]
	v_mov_b32_e32 v37, v22
	v_mov_b32_e32 v29, v26
	v_pk_add_f32 v[26:27], v[66:67], v[66:67]
	v_pk_add_f32 v[22:23], v[36:37], v[28:29]
	v_mov_b32_e32 v36, v56
	v_mov_b32_e32 v37, v27
	v_pk_mul_f32 v[36:37], v[36:37], v[36:37]
	v_mov_b32_e32 v58, v30
	v_mul_f32_e32 v21, v22, v23
	v_mov_b32_e32 v22, v37
	v_pk_mul_f32 v[58:59], v[58:59], v[22:23]
	v_mov_b32_e32 v22, v27
	v_mul_f32_e32 v28, v23, v21
	v_pk_mul_f32 v[22:23], v[56:57], v[22:23]
	v_mul_f32_e32 v21, v27, v59
	v_mov_b32_e32 v25, v56
	v_fmac_f32_e32 v21, v56, v23
	v_pk_mul_f32 v[56:57], v[24:25], v[58:59]
	v_pk_fma_f32 v[58:59], v[32:33], v[36:37], v[58:59]
	v_mul_f32_e32 v31, v30, v36
	v_sub_f32_e32 v25, v36, v37
	v_mov_b32_e32 v59, v57
	v_fmac_f32_e32 v31, v32, v37
	v_mul_f32_e32 v25, v66, v25
	v_fmac_f32_e32 v31, v26, v22
	v_fma_f32 v30, -v38, v22, v25
	v_pk_fma_f32 v[26:27], v[26:27], v[22:23], v[58:59] neg_lo:[1,0,0] neg_hi:[1,0,0]
	v_mul_f32_e32 v29, v39, v24
	v_mul_f32_e32 v23, v50, v24
	;; [unrolled: 1-line block ×4, first 2 shown]
	v_fmac_f32_e32 v22, v50, v20
	v_fma_f32 v25, v35, v20, -v23
	v_fmac_f32_e32 v29, v41, v20
	v_fma_f32 v20, v39, v20, -v32
	s_cbranch_scc1 .LBB0_2
; %bb.3:
	v_mul_f32_e32 v1, v20, v20
	v_fmac_f32_e32 v1, v25, v25
	v_fmac_f32_e32 v1, v22, v22
	;; [unrolled: 1-line block ×3, first 2 shown]
	s_mov_b32 s6, 0xf800000
	v_mul_f32_e32 v19, 0x4f800000, v1
	v_cmp_gt_f32_e32 vcc, s6, v1
	v_cndmask_b32_e32 v19, v1, v19, vcc
	v_sqrt_f32_e32 v21, v19
	v_mov_b32_e32 v50, 0x260
	v_mov_b32_e32 v41, s3
	s_mov_b32 s7, 0x2b8cbccc
	v_add_u32_e32 v23, -1, v21
	v_fma_f32 v26, -v23, v21, v19
	v_add_u32_e32 v24, 1, v21
	v_cmp_ge_f32_e64 s[0:1], 0, v26
	v_cndmask_b32_e64 v23, v21, v23, s[0:1]
	v_fma_f32 v21, -v24, v21, v19
	v_cmp_lt_f32_e64 s[0:1], 0, v21
	v_cndmask_b32_e64 v21, v23, v24, s[0:1]
	v_mul_f32_e32 v23, 0x37800000, v21
	v_cndmask_b32_e32 v21, v21, v23, vcc
	v_cmp_class_f32_e32 vcc, v19, v50
	v_cndmask_b32_e32 v19, v21, v19, vcc
	v_div_scale_f32 v21, s[0:1], v19, v19, 1.0
	v_rcp_f32_e32 v23, v21
	v_fma_f32 v24, -v21, v23, 1.0
	v_fmac_f32_e32 v23, v24, v23
	v_div_scale_f32 v24, vcc, 1.0, v19, 1.0
	v_mul_f32_e32 v26, v24, v23
	v_fma_f32 v27, -v21, v26, v24
	v_fmac_f32_e32 v26, v27, v23
	v_fma_f32 v21, -v21, v26, v24
	v_div_fmas_f32 v21, v21, v23, v26
	v_div_fixup_f32 v19, v21, v19, 1.0
	v_mul_f32_e32 v21, 0.5, v19
	v_mul_f32_e32 v21, v19, v21
	v_mul_f32_e32 v21, v19, v21
	v_fmac_f32_e32 v19, 0.5, v19
	v_fma_f32 v26, -v1, v21, v19
	v_mul_f32_e32 v21, v29, v26
	v_mov_b32_e32 v30, v21
	v_mov_b32_e32 v24, v21
	;; [unrolled: 1-line block ×5, first 2 shown]
	v_pk_add_f32 v[30:31], v[30:31], v[30:31]
	v_pk_mul_f32 v[24:25], v[24:25], v[32:33]
	v_pk_mul_f32 v[28:29], v[20:21], v[26:27]
	v_mov_b32_e32 v23, v25
	v_mov_b32_e32 v32, v26
	;; [unrolled: 1-line block ×3, first 2 shown]
	v_pk_mul_f32 v[64:65], v[22:23], v[32:33]
	v_pk_add_f32 v[36:37], v[28:29], v[28:29]
	v_mov_b32_e32 v34, v25
	v_mov_b32_e32 v35, v64
	v_pk_mul_f32 v[38:39], v[64:65], v[36:37]
	v_pk_mul_f32 v[68:69], v[34:35], v[34:35]
	v_mov_b32_e32 v39, v38
	v_mov_b32_e32 v38, v64
	v_pk_fma_f32 v[62:63], v[22:23], v[32:33], v[38:39] neg_lo:[1,0,0] neg_hi:[1,0,0]
	v_pk_fma_f32 v[22:23], v[28:29], v[28:29], v[68:69] neg_lo:[1,0,0] neg_hi:[1,0,0]
	v_mov_b32_e32 v1, v22
	v_pk_fma_f32 v[32:33], v[34:35], v[34:35], v[0:1]
	v_sub_f32_e32 v1, v22, v69
	v_add_f32_e32 v55, v29, v1
	v_ashrrev_i32_e32 v1, 31, v0
	v_lshlrev_b64 v[0:1], 2, v[0:1]
	v_add_co_u32_e32 v0, vcc, s2, v0
	v_addc_co_u32_e32 v1, vcc, v41, v1, vcc
	v_add_co_u32_e32 v2, vcc, s2, v2
	v_addc_co_u32_e32 v3, vcc, v41, v3, vcc
	v_add_co_u32_e32 v4, vcc, s2, v4
	v_addc_co_u32_e32 v5, vcc, v41, v5, vcc
	v_add_co_u32_e32 v6, vcc, s2, v6
	v_addc_co_u32_e32 v7, vcc, v41, v7, vcc
	v_pk_add_f32 v[22:23], v[64:65], v[64:65]
	v_add_co_u32_e32 v8, vcc, s2, v8
	v_mov_b32_e32 v31, v25
	v_mov_b32_e32 v46, v29
	v_pk_fma_f32 v[70:71], v[28:29], v[28:29], v[68:69]
	v_mov_b32_e32 v29, v22
	v_addc_co_u32_e32 v9, vcc, v41, v9, vcc
	v_pk_mul_f32 v[72:73], v[28:29], v[30:31]
	v_mov_b32_e32 v32, v28
	v_add_co_u32_e32 v10, vcc, s2, v10
	v_mov_b32_e32 v24, v73
	v_pk_fma_f32 v[60:61], v[20:21], v[26:27], v[32:33] neg_lo:[1,0,0] neg_hi:[1,0,0]
	v_addc_co_u32_e32 v11, vcc, v41, v11, vcc
	v_pk_fma_f32 v[56:57], v[28:29], v[30:31], v[24:25] neg_lo:[0,0,1] neg_hi:[0,0,1]
	v_mov_b32_e32 v60, v36
	v_mov_b32_e32 v24, v25
	;; [unrolled: 1-line block ×3, first 2 shown]
	v_add_co_u32_e32 v12, vcc, s2, v12
	v_pk_mul_f32 v[24:25], v[24:25], v[60:61]
	v_addc_co_u32_e32 v13, vcc, v41, v13, vcc
	v_mov_b32_e32 v23, v63
	v_fma_f32 v62, v21, v22, -v24
	v_mov_b32_e32 v20, v21
	v_mov_b32_e32 v21, v52
	v_add_co_u32_e32 v14, vcc, s2, v14
	v_pk_fma_f32 v[58:59], v[20:21], v[22:23], v[24:25]
	v_add_u32_e32 v20, s8, v18
	v_addc_co_u32_e32 v15, vcc, v41, v15, vcc
	v_ashrrev_i32_e32 v21, 31, v20
	v_add_co_u32_e32 v16, vcc, s2, v16
	v_addc_co_u32_e32 v17, vcc, v41, v17, vcc
	v_lshlrev_b64 v[18:19], 2, v[20:21]
	v_add_u32_e32 v22, s8, v20
	v_add_co_u32_e32 v18, vcc, s2, v18
	v_ashrrev_i32_e32 v23, 31, v22
	v_addc_co_u32_e32 v19, vcc, v41, v19, vcc
	v_lshlrev_b64 v[20:21], 2, v[22:23]
	v_add_u32_e32 v24, s8, v22
	v_add_co_u32_e32 v20, vcc, s2, v20
	v_ashrrev_i32_e32 v25, 31, v24
	;; [unrolled: 5-line block ×3, first 2 shown]
	v_addc_co_u32_e32 v23, vcc, v41, v23, vcc
	v_lshlrev_b64 v[26:27], 2, v[24:25]
	v_add_co_u32_e32 v66, vcc, s2, v26
	v_add_u32_e32 v26, s8, v24
	v_addc_co_u32_e32 v67, vcc, v41, v27, vcc
	v_ashrrev_i32_e32 v27, 31, v26
	v_lshlrev_b64 v[24:25], 2, v[26:27]
	v_add_u32_e32 v28, s8, v26
	v_add_co_u32_e32 v24, vcc, s2, v24
	v_ashrrev_i32_e32 v29, 31, v28
	v_addc_co_u32_e32 v25, vcc, v41, v25, vcc
	v_lshlrev_b64 v[26:27], 2, v[28:29]
	v_add_u32_e32 v30, s8, v28
	v_add_co_u32_e32 v26, vcc, s2, v26
	v_ashrrev_i32_e32 v31, 31, v30
	v_addc_co_u32_e32 v27, vcc, v41, v27, vcc
	;; [unrolled: 5-line block ×3, first 2 shown]
	v_lshlrev_b64 v[30:31], 2, v[32:33]
	v_add_u32_e32 v34, s8, v32
	v_add_co_u32_e32 v30, vcc, s2, v30
	v_ashrrev_i32_e32 v35, 31, v34
	v_mov_b32_e32 v68, v69
	v_addc_co_u32_e32 v31, vcc, v41, v31, vcc
	v_lshlrev_b64 v[32:33], 2, v[34:35]
	v_add_u32_e32 v36, s8, v34
	v_pk_add_f32 v[68:69], v[70:71], v[68:69] neg_lo:[0,1] neg_hi:[0,1]
	v_add_co_u32_e32 v32, vcc, s2, v32
	v_ashrrev_i32_e32 v37, 31, v36
	v_pk_add_f32 v[70:71], v[68:69], v[46:47] neg_lo:[0,1] neg_hi:[0,1]
	v_mov_b32_e32 v46, v65
	v_addc_co_u32_e32 v33, vcc, v41, v33, vcc
	v_lshlrev_b64 v[34:35], 2, v[36:37]
	v_add_u32_e32 v38, s8, v36
	v_pk_fma_f32 v[64:65], v[64:65], v[60:61], v[46:47]
	v_mul_f32_e32 v46, v52, v70
	v_add_co_u32_e32 v34, vcc, s2, v34
	v_ashrrev_i32_e32 v39, 31, v38
	v_add_f32_e32 v60, v72, v73
	v_fmac_f32_e32 v46, v53, v64
	v_mul_f32_e32 v53, v53, v62
	v_addc_co_u32_e32 v35, vcc, v41, v35, vcc
	v_lshlrev_b64 v[36:37], 2, v[38:39]
	v_add_u32_e32 v38, s8, v38
	v_fmac_f32_e32 v53, v52, v60
	v_mov_b32_e32 v52, v47
	v_mov_b32_e32 v65, v61
	v_add_co_u32_e32 v36, vcc, s2, v36
	v_ashrrev_i32_e32 v39, 31, v38
	v_mul_f32_e32 v68, v47, v62
	v_mov_b32_e32 v71, v63
	v_pk_mul_f32 v[72:73], v[52:53], v[64:65] op_sel_hi:[0,1]
	v_addc_co_u32_e32 v37, vcc, v41, v37, vcc
	v_lshlrev_b64 v[38:39], 2, v[38:39]
	v_fmac_f32_e32 v68, v44, v60
	v_pk_fma_f32 v[44:45], v[44:45], v[70:71], v[72:73]
	v_mov_b32_e32 v57, v58
	v_mov_b32_e32 v47, v59
	v_add_co_u32_e32 v38, vcc, s2, v38
	v_fmac_f32_e32 v68, v42, v55
	v_pk_fma_f32 v[42:43], v[42:43], v[56:57], v[44:45] op_sel_hi:[0,1,1]
	v_fmac_f32_e32 v53, v40, v55
	v_pk_fma_f32 v[44:45], v[40:41], v[56:57], v[46:47] op_sel_hi:[0,1,1]
	v_mov_b32_e32 v40, v51
	v_addc_co_u32_e32 v39, vcc, v41, v39, vcc
	v_pk_mul_f32 v[40:41], v[40:41], v[64:65] op_sel_hi:[0,1]
	v_pk_fma_f32 v[40:41], v[48:49], v[70:71], v[40:41]
	v_pk_fma_f32 v[46:47], v[54:55], v[56:57], v[40:41] op_sel_hi:[0,1,1]
	v_pk_mul_f32 v[40:41], v[44:45], v[44:45]
	v_pk_fma_f32 v[40:41], v[42:43], v[42:43], v[40:41]
	v_mul_f32_e32 v52, v51, v62
	v_pk_fma_f32 v[40:41], v[46:47], v[46:47], v[40:41]
	v_fmac_f32_e32 v52, v48, v60
	v_xor_b32_e32 v48, v63, v70
	v_cmp_lt_f32_e64 s[0:1], v40, v41
	v_cndmask_b32_e64 v51, 0, v48, s[0:1]
	v_mul_f32_e32 v48, v53, v53
	v_xor_b32_e32 v49, v40, v41
	v_fmac_f32_e32 v52, v54, v55
	v_fmac_f32_e32 v48, v68, v68
	v_cndmask_b32_e64 v49, 0, v49, s[0:1]
	v_xor_b32_e32 v54, v51, v70
	v_fmac_f32_e32 v48, v52, v52
	v_xor_b32_e32 v40, v49, v40
	v_xor_b32_e32 v57, v54, v60
	v_cmp_gt_f32_e64 s[2:3], v48, v40
	v_cndmask_b32_e64 v57, 0, v57, s[2:3]
	v_xor_b32_e32 v59, v57, v54
	v_cndmask_b32_e64 v54, 1.0, -1.0, s[2:3]
	v_mul_f32_e32 v59, v54, v59
	global_store_dword v[66:67], v59, off
	v_xor_b32_e32 v59, v42, v43
	v_cndmask_b32_e64 v59, 0, v59, s[0:1]
	v_xor_b32_e32 v65, v59, v42
	v_xor_b32_e32 v42, v44, v45
	v_cndmask_b32_e64 v42, 0, v42, s[0:1]
	v_xor_b32_e32 v66, v59, v43
	v_xor_b32_e32 v43, v42, v44
	v_xor_b32_e32 v67, v42, v45
	v_xor_b32_e32 v42, v46, v47
	v_cndmask_b32_e64 v42, 0, v42, s[0:1]
	v_xor_b32_e32 v44, v43, v53
	v_xor_b32_e32 v59, v42, v46
	;; [unrolled: 1-line block ×4, first 2 shown]
	v_cndmask_b32_e64 v51, 0, v44, s[2:3]
	v_xor_b32_e32 v43, v51, v43
	v_mul_f32_e32 v63, v54, v43
	v_xor_b32_e32 v44, v65, v68
	v_mul_f32_e32 v43, v63, v63
	v_cndmask_b32_e64 v69, 0, v44, s[2:3]
	v_xor_b32_e32 v44, v69, v65
	v_cmp_le_f32_e32 vcc, s7, v43
	v_mul_f32_e32 v65, v54, v44
	v_fma_f32 v44, -v54, v44, 0
	v_cndmask_b32_e32 v45, 0, v63, vcc
	v_max3_f32 v44, v44, v65, s7
	v_mul_f32_e32 v46, v45, v45
	v_fmac_f32_e32 v46, v44, v44
	v_mul_f32_e32 v43, 0x4f800000, v46
	v_cmp_gt_f32_e32 vcc, s6, v46
	v_cndmask_b32_e32 v43, v46, v43, vcc
	v_sqrt_f32_e32 v70, v43
	v_xor_b32_e32 v41, v49, v41
	v_xor_b32_e32 v51, v51, v53
	v_cndmask_b32_e64 v53, 1.0, -1.0, s[0:1]
	v_add_u32_e32 v71, -1, v70
	v_fma_f32 v72, -v71, v70, v43
	v_cmp_ge_f32_e64 s[4:5], 0, v72
	v_add_u32_e32 v72, 1, v70
	v_cndmask_b32_e64 v71, v70, v71, s[4:5]
	v_fma_f32 v70, -v72, v70, v43
	v_cmp_lt_f32_e64 s[4:5], 0, v70
	v_cndmask_b32_e64 v70, v71, v72, s[4:5]
	v_mul_f32_e32 v71, 0x37800000, v70
	v_cndmask_b32_e32 v70, v70, v71, vcc
	v_cmp_class_f32_e32 vcc, v43, v50
	v_cndmask_b32_e32 v70, v70, v43, vcc
	v_div_scale_f32 v43, s[4:5], v70, v70, 1.0
	v_rcp_f32_e32 v71, v43
	v_cndmask_b32_e64 v40, v48, v40, s[2:3]
	v_xor_b32_e32 v48, v69, v68
	v_mul_f32_e32 v47, v53, v47
	v_fma_f32 v72, -v43, v71, 1.0
	v_fmac_f32_e32 v71, v72, v71
	v_div_scale_f32 v72, vcc, 1.0, v70, 1.0
	v_mul_f32_e32 v73, v72, v71
	v_fma_f32 v74, -v43, v73, v72
	v_fmac_f32_e32 v73, v74, v71
	v_fma_f32 v43, -v43, v73, v72
	v_div_fmas_f32 v71, v43, v71, v73
	v_xor_b32_e32 v43, v61, v64
	v_cndmask_b32_e64 v72, 0, v43, s[0:1]
	v_xor_b32_e32 v43, v72, v64
	v_div_fixup_f32 v64, v71, v70, 1.0
	v_mul_f32_e32 v70, 0.5, v64
	v_mul_f32_e32 v70, v64, v70
	v_mul_f32_e32 v70, v64, v70
	v_fmac_f32_e32 v64, 0.5, v64
	v_fma_f32 v64, -v46, v70, v64
	v_fmac_f32_e32 v44, v46, v64
	v_cmp_le_f32_e32 vcc, 0, v65
	v_cndmask_b32_e32 v70, v44, v45, vcc
	v_cndmask_b32_e32 v64, v45, v44, vcc
	v_mul_f32_e32 v71, v70, v70
	v_fmac_f32_e32 v71, v64, v64
	v_mul_f32_e32 v44, 0x4f800000, v71
	v_cmp_gt_f32_e32 vcc, s6, v71
	v_cndmask_b32_e32 v45, v71, v44, vcc
	v_sqrt_f32_e32 v46, v45
	v_xor_b32_e32 v44, v72, v61
	v_mul_f32_e32 v42, v53, v42
	v_mul_f32_e32 v44, v53, v44
	v_add_u32_e32 v61, -1, v46
	v_fma_f32 v72, -v61, v46, v45
	v_cmp_ge_f32_e64 s[4:5], 0, v72
	v_add_u32_e32 v72, 1, v46
	v_cndmask_b32_e64 v61, v46, v61, s[4:5]
	v_fma_f32 v46, -v72, v46, v45
	v_cmp_lt_f32_e64 s[4:5], 0, v46
	v_cndmask_b32_e64 v61, v61, v72, s[4:5]
	v_mul_f32_e32 v72, 0x37800000, v61
	v_cndmask_b32_e32 v61, v61, v72, vcc
	v_cmp_class_f32_e32 vcc, v45, v50
	v_cndmask_b32_e32 v61, v61, v45, vcc
	v_div_scale_f32 v72, s[4:5], v61, v61, 1.0
	v_rcp_f32_e32 v73, v72
	v_xor_b32_e32 v46, v56, v58
	v_cndmask_b32_e64 v46, 0, v46, s[0:1]
	v_xor_b32_e32 v45, v46, v56
	v_fma_f32 v56, -v72, v73, 1.0
	v_fmac_f32_e32 v73, v56, v73
	v_div_scale_f32 v56, vcc, 1.0, v61, 1.0
	v_xor_b32_e32 v46, v46, v58
	v_mul_f32_e32 v58, v56, v73
	v_fma_f32 v74, -v72, v58, v56
	v_fmac_f32_e32 v58, v74, v73
	v_fma_f32 v56, -v72, v58, v56
	v_div_fmas_f32 v56, v56, v73, v58
	v_div_fixup_f32 v56, v56, v61, 1.0
	v_mul_f32_e32 v58, 0.5, v56
	v_mul_f32_e32 v58, v56, v58
	v_mul_f32_e32 v58, v56, v58
	v_fmac_f32_e32 v56, 0.5, v56
	v_fma_f32 v56, -v71, v58, v56
	v_mul_f32_e32 v58, v56, v64
	v_mul_f32_e32 v56, v56, v70
	;; [unrolled: 1-line block ×4, first 2 shown]
	v_fma_f32 v58, v58, v58, -v61
	v_xor_b32_e32 v61, v59, v52
	v_cndmask_b32_e64 v61, 0, v61, s[2:3]
	v_add_f32_e32 v56, v56, v56
	v_xor_b32_e32 v59, v61, v59
	v_mul_f32_e32 v63, v63, v56
	v_mul_f32_e32 v64, v54, v59
	v_fmac_f32_e32 v63, v65, v58
	v_mul_f32_e32 v59, v64, v64
	v_cmp_le_f32_e32 vcc, s7, v59
	v_max3_f32 v65, -v63, v63, s7
	v_cndmask_b32_e32 v59, 0, v64, vcc
	v_mul_f32_e32 v70, v65, v65
	v_fmac_f32_e32 v70, v59, v59
	v_mul_f32_e32 v71, 0x4f800000, v70
	v_cmp_gt_f32_e32 vcc, s6, v70
	v_cndmask_b32_e32 v71, v70, v71, vcc
	v_sqrt_f32_e32 v72, v71
	v_cmp_gt_f32_e64 s[0:1], v40, v41
	v_mul_f32_e32 v69, 0, v56
	v_mul_f32_e32 v46, v53, v46
	v_add_u32_e32 v73, -1, v72
	v_fma_f32 v74, -v73, v72, v71
	v_cmp_ge_f32_e64 s[4:5], 0, v74
	v_add_u32_e32 v74, 1, v72
	v_cndmask_b32_e64 v73, v72, v73, s[4:5]
	v_fma_f32 v72, -v74, v72, v71
	v_cmp_lt_f32_e64 s[4:5], 0, v72
	v_cndmask_b32_e64 v72, v73, v74, s[4:5]
	v_mul_f32_e32 v73, 0x37800000, v72
	v_cndmask_b32_e32 v72, v72, v73, vcc
	v_cmp_class_f32_e32 vcc, v71, v50
	v_cndmask_b32_e32 v71, v72, v71, vcc
	v_div_scale_f32 v72, s[4:5], v71, v71, 1.0
	v_rcp_f32_e32 v73, v72
	v_fma_f32 v74, -v72, v73, 1.0
	v_fmac_f32_e32 v73, v74, v73
	v_div_scale_f32 v74, vcc, 1.0, v71, 1.0
	v_mul_f32_e32 v75, v74, v73
	v_fma_f32 v76, -v72, v75, v74
	v_fmac_f32_e32 v75, v76, v73
	v_fma_f32 v72, -v72, v75, v74
	v_div_fmas_f32 v72, v72, v73, v75
	v_div_fixup_f32 v71, v72, v71, 1.0
	v_mul_f32_e32 v72, 0.5, v71
	v_mul_f32_e32 v72, v71, v72
	v_mul_f32_e32 v72, v71, v72
	v_fmac_f32_e32 v71, 0.5, v71
	v_fma_f32 v71, -v70, v72, v71
	v_fmac_f32_e32 v65, v70, v71
	v_cmp_le_f32_e32 vcc, 0, v63
	v_cndmask_b32_e32 v70, v59, v65, vcc
	v_cndmask_b32_e32 v59, v65, v59, vcc
	v_mul_f32_e32 v65, v59, v59
	v_fmac_f32_e32 v65, v70, v70
	v_mul_f32_e32 v71, 0x4f800000, v65
	v_cmp_gt_f32_e32 vcc, s6, v65
	v_cndmask_b32_e32 v71, v65, v71, vcc
	v_sqrt_f32_e32 v72, v71
	v_add_u32_e32 v73, -1, v72
	v_fma_f32 v74, -v73, v72, v71
	v_cmp_ge_f32_e64 s[4:5], 0, v74
	v_add_u32_e32 v74, 1, v72
	v_cndmask_b32_e64 v73, v72, v73, s[4:5]
	v_fma_f32 v72, -v74, v72, v71
	v_cmp_lt_f32_e64 s[4:5], 0, v72
	v_cndmask_b32_e64 v72, v73, v74, s[4:5]
	v_mul_f32_e32 v73, 0x37800000, v72
	v_cndmask_b32_e32 v72, v72, v73, vcc
	v_cmp_class_f32_e32 vcc, v71, v50
	v_cndmask_b32_e32 v71, v72, v71, vcc
	v_div_scale_f32 v72, s[4:5], v71, v71, 1.0
	v_rcp_f32_e32 v73, v72
	v_fma_f32 v49, -v72, v73, 1.0
	v_fmac_f32_e32 v73, v49, v73
	v_div_scale_f32 v49, vcc, 1.0, v71, 1.0
	v_mul_f32_e32 v74, v49, v73
	v_fma_f32 v75, -v72, v74, v49
	v_fmac_f32_e32 v74, v75, v73
	v_fma_f32 v49, -v72, v74, v49
	v_div_fmas_f32 v49, v49, v73, v74
	v_div_fixup_f32 v49, v49, v71, 1.0
	v_mul_f32_e32 v71, 0.5, v49
	v_mul_f32_e32 v71, v49, v71
	v_mul_f32_e32 v71, v49, v71
	v_fmac_f32_e32 v49, 0.5, v49
	v_fma_f32 v49, -v65, v71, v49
	v_mul_f32_e32 v65, v53, v66
	v_xor_b32_e32 v66, v48, v65
	v_cndmask_b32_e64 v66, 0, v66, s[0:1]
	v_xor_b32_e32 v40, v66, v65
	v_xor_b32_e32 v65, v66, v48
	v_mul_f32_e32 v48, v53, v67
	v_mul_f32_e32 v59, v49, v59
	;; [unrolled: 1-line block ×3, first 2 shown]
	v_xor_b32_e32 v49, v51, v48
	v_cndmask_b32_e64 v49, 0, v49, s[0:1]
	v_xor_b32_e32 v66, v49, v48
	v_xor_b32_e32 v51, v49, v51
	v_pk_mul_f32 v[48:49], v[58:59], v[40:41]
	v_mul_f32_e32 v48, v56, v66
	v_mul_f32_e32 v67, v56, v40
	v_pk_fma_f32 v[48:49], v[58:59], v[40:41], v[48:49]
	v_mul_f32_e32 v40, v59, v59
	v_fma_f32 v40, v41, v41, -v40
	v_xor_b32_e32 v41, v61, v52
	v_xor_b32_e32 v52, v41, v47
	v_cndmask_b32_e64 v52, 0, v52, s[0:1]
	v_fma_f32 v66, v58, v66, -v67
	v_cndmask_b32_e64 v67, 1.0, -1.0, s[0:1]
	v_xor_b32_e32 v47, v52, v47
	v_mul_f32_e32 v48, v48, v49
	v_mul_f32_e32 v51, v67, v51
	v_fma_f32 v47, v40, v47, -v48
	v_mul_f32_e32 v65, v67, v65
	v_mul_f32_e32 v68, v51, v56
	;; [unrolled: 1-line block ×3, first 2 shown]
	v_fmac_f32_e32 v68, v65, v58
	v_mul_f32_e32 v65, v65, v56
	v_cmp_le_f32_e32 vcc, s7, v48
	v_fma_f32 v51, v51, v58, -v65
	v_mov_b32_e32 v65, v58
	v_cndmask_b32_e32 v48, 0, v47, vcc
	v_fmac_f32_e32 v65, 0x80000000, v56
	v_fma_f32 v70, 0, v56, v58
	v_fma_f32 v71, v58, 0, -v56
	v_fmac_f32_e32 v56, 0, v58
	v_fma_f32 v72, v58, 0, -v69
	v_fmac_f32_e32 v69, 0, v58
	v_max3_f32 v58, -v66, v66, s7
	v_mul_f32_e32 v59, v48, v48
	v_fmac_f32_e32 v59, v58, v58
	v_mul_f32_e32 v61, 0x4f800000, v59
	v_cmp_gt_f32_e32 vcc, s6, v59
	v_cndmask_b32_e32 v61, v59, v61, vcc
	v_sqrt_f32_e32 v73, v61
	v_xor_b32_e32 v41, v52, v41
	v_mul_f32_e32 v52, v64, v49
	v_fmac_f32_e32 v52, v63, v40
	v_add_u32_e32 v63, -1, v73
	v_fma_f32 v64, -v63, v73, v61
	v_cmp_ge_f32_e64 s[4:5], 0, v64
	v_add_u32_e32 v64, 1, v73
	v_cndmask_b32_e64 v63, v73, v63, s[4:5]
	v_fma_f32 v73, -v64, v73, v61
	v_cmp_lt_f32_e64 s[4:5], 0, v73
	v_cndmask_b32_e64 v63, v63, v64, s[4:5]
	v_mul_f32_e32 v64, 0x37800000, v63
	v_cndmask_b32_e32 v63, v63, v64, vcc
	v_cmp_class_f32_e32 vcc, v61, v50
	v_cndmask_b32_e32 v61, v63, v61, vcc
	v_div_scale_f32 v63, s[4:5], v61, v61, 1.0
	v_rcp_f32_e32 v64, v63
	v_mul_f32_e32 v41, v67, v41
	v_mul_f32_e32 v68, v68, v49
	v_fma_f32 v41, v41, v40, -v68
	v_fma_f32 v68, -v63, v64, 1.0
	v_fmac_f32_e32 v64, v68, v64
	v_div_scale_f32 v68, vcc, 1.0, v61, 1.0
	v_mul_f32_e32 v73, v68, v64
	v_fma_f32 v74, -v63, v73, v68
	v_fmac_f32_e32 v73, v74, v64
	v_fma_f32 v63, -v63, v73, v68
	v_div_fmas_f32 v63, v63, v64, v73
	v_div_fixup_f32 v61, v63, v61, 1.0
	v_mul_f32_e32 v63, 0.5, v61
	v_mul_f32_e32 v63, v61, v63
	v_mul_f32_e32 v63, v61, v63
	v_fmac_f32_e32 v61, 0.5, v61
	v_fma_f32 v61, -v59, v63, v61
	v_fmac_f32_e32 v58, v59, v61
	v_cmp_le_f32_e32 vcc, 0, v66
	v_cndmask_b32_e32 v59, v48, v58, vcc
	v_cndmask_b32_e32 v48, v58, v48, vcc
	v_mul_f32_e32 v58, v48, v48
	v_fmac_f32_e32 v58, v59, v59
	v_mul_f32_e32 v61, 0x4f800000, v58
	v_cmp_gt_f32_e32 vcc, s6, v58
	v_cndmask_b32_e32 v61, v58, v61, vcc
	v_sqrt_f32_e32 v63, v61
	v_mul_f32_e32 v64, 0, v40
	v_fma_f32 v68, -v70, v49, v64
	v_fma_f32 v64, -v56, v49, v64
	v_add_u32_e32 v73, -1, v63
	v_fma_f32 v74, -v73, v63, v61
	v_cmp_ge_f32_e64 s[4:5], 0, v74
	v_add_u32_e32 v74, 1, v63
	v_cndmask_b32_e64 v73, v63, v73, s[4:5]
	v_fma_f32 v63, -v74, v63, v61
	v_cmp_lt_f32_e64 s[4:5], 0, v63
	v_cndmask_b32_e64 v73, v73, v74, s[4:5]
	v_mul_f32_e32 v74, 0x37800000, v73
	v_cndmask_b32_e32 v73, v73, v74, vcc
	v_cmp_class_f32_e32 vcc, v61, v50
	v_cndmask_b32_e32 v50, v73, v61, vcc
	v_div_scale_f32 v61, s[4:5], v50, v50, 1.0
	v_rcp_f32_e32 v73, v61
	v_fma_f32 v63, v69, v40, v49
	v_fma_f32 v69, -v69, v49, v40
	v_mul_f32_e32 v49, 0, v49
	v_fma_f32 v70, v70, v40, v49
	v_fmac_f32_e32 v49, v56, v40
	v_fma_f32 v40, -v61, v73, 1.0
	v_fmac_f32_e32 v73, v40, v73
	v_div_scale_f32 v40, vcc, 1.0, v50, 1.0
	v_mul_f32_e32 v56, v40, v73
	v_fma_f32 v74, -v61, v56, v40
	v_fmac_f32_e32 v56, v74, v73
	v_fma_f32 v40, -v61, v56, v40
	v_div_fmas_f32 v40, v40, v73, v56
	v_div_fixup_f32 v40, v40, v50, 1.0
	v_mul_f32_e32 v50, 0.5, v40
	v_mul_f32_e32 v50, v40, v50
	v_mul_f32_e32 v50, v40, v50
	v_fmac_f32_e32 v40, 0.5, v40
	v_fma_f32 v40, -v58, v50, v40
	v_mul_f32_e32 v50, v40, v59
	v_mul_f32_e32 v40, v40, v48
	;; [unrolled: 1-line block ×4, first 2 shown]
	v_add_f32_e32 v40, v40, v40
	v_fma_f32 v48, v50, v50, -v48
	v_mul_f32_e32 v50, v51, v40
	v_mul_f32_e32 v47, v47, v40
	v_fma_f32 v41, v41, v48, -v50
	v_mul_f32_e32 v50, v68, v40
	v_mul_f32_e32 v51, v71, v40
	;; [unrolled: 1-line block ×6, first 2 shown]
	v_fmac_f32_e32 v47, v66, v48
	v_fmac_f32_e32 v50, v71, v48
	v_fma_f32 v51, v68, v48, -v51
	v_fmac_f32_e32 v56, v65, v48
	v_fma_f32 v58, v64, v48, -v58
	;; [unrolled: 2-line block ×3, first 2 shown]
	v_xor_b32_e32 v53, v57, v60
	v_xor_b32_e32 v57, v43, v62
	v_xor_b32_e32 v59, v45, v55
	v_cndmask_b32_e64 v57, 0, v57, s[2:3]
	v_cndmask_b32_e64 v59, 0, v59, s[2:3]
	v_xor_b32_e32 v43, v57, v43
	v_xor_b32_e32 v45, v59, v45
	v_mul_f32_e32 v43, v54, v43
	v_mul_f32_e32 v45, v54, v45
	v_xor_b32_e32 v54, v53, v42
	v_xor_b32_e32 v57, v57, v62
	v_cndmask_b32_e64 v54, 0, v54, s[0:1]
	v_xor_b32_e32 v42, v54, v42
	v_xor_b32_e32 v53, v54, v53
	;; [unrolled: 1-line block ×4, first 2 shown]
	v_cndmask_b32_e64 v54, 0, v54, s[0:1]
	v_xor_b32_e32 v44, v54, v44
	v_xor_b32_e32 v54, v54, v57
	v_xor_b32_e32 v57, v55, v46
	v_cndmask_b32_e64 v57, 0, v57, s[0:1]
	v_xor_b32_e32 v55, v57, v55
	v_xor_b32_e32 v46, v57, v46
	v_mul_f32_e32 v53, v67, v53
	v_mul_f32_e32 v54, v67, v54
	v_mul_f32_e32 v55, v67, v55
	global_store_dword v[24:25], v42, off
	global_store_dword v[26:27], v53, off
	;; [unrolled: 1-line block ×20, first 2 shown]
.LBB0_4:
	s_endpgm
	.section	.rodata,"a",@progbits
	.p2align	6, 0x0
	.amdhsa_kernel _Z8svd3_SOAPKfPfi
		.amdhsa_group_segment_fixed_size 0
		.amdhsa_private_segment_fixed_size 0
		.amdhsa_kernarg_size 280
		.amdhsa_user_sgpr_count 6
		.amdhsa_user_sgpr_private_segment_buffer 1
		.amdhsa_user_sgpr_dispatch_ptr 0
		.amdhsa_user_sgpr_queue_ptr 0
		.amdhsa_user_sgpr_kernarg_segment_ptr 1
		.amdhsa_user_sgpr_dispatch_id 0
		.amdhsa_user_sgpr_flat_scratch_init 0
		.amdhsa_user_sgpr_kernarg_preload_length 0
		.amdhsa_user_sgpr_kernarg_preload_offset 0
		.amdhsa_user_sgpr_private_segment_size 0
		.amdhsa_uses_dynamic_stack 0
		.amdhsa_system_sgpr_private_segment_wavefront_offset 0
		.amdhsa_system_sgpr_workgroup_id_x 1
		.amdhsa_system_sgpr_workgroup_id_y 0
		.amdhsa_system_sgpr_workgroup_id_z 0
		.amdhsa_system_sgpr_workgroup_info 0
		.amdhsa_system_vgpr_workitem_id 0
		.amdhsa_next_free_vgpr 77
		.amdhsa_next_free_sgpr 10
		.amdhsa_accum_offset 80
		.amdhsa_reserve_vcc 1
		.amdhsa_reserve_flat_scratch 0
		.amdhsa_float_round_mode_32 0
		.amdhsa_float_round_mode_16_64 0
		.amdhsa_float_denorm_mode_32 3
		.amdhsa_float_denorm_mode_16_64 3
		.amdhsa_dx10_clamp 1
		.amdhsa_ieee_mode 1
		.amdhsa_fp16_overflow 0
		.amdhsa_tg_split 0
		.amdhsa_exception_fp_ieee_invalid_op 0
		.amdhsa_exception_fp_denorm_src 0
		.amdhsa_exception_fp_ieee_div_zero 0
		.amdhsa_exception_fp_ieee_overflow 0
		.amdhsa_exception_fp_ieee_underflow 0
		.amdhsa_exception_fp_ieee_inexact 0
		.amdhsa_exception_int_div_zero 0
	.end_amdhsa_kernel
	.text
.Lfunc_end0:
	.size	_Z8svd3_SOAPKfPfi, .Lfunc_end0-_Z8svd3_SOAPKfPfi
                                        ; -- End function
	.section	.AMDGPU.csdata,"",@progbits
; Kernel info:
; codeLenInByte = 5392
; NumSgprs: 14
; NumVgprs: 77
; NumAgprs: 0
; TotalNumVgprs: 77
; ScratchSize: 0
; MemoryBound: 0
; FloatMode: 240
; IeeeMode: 1
; LDSByteSize: 0 bytes/workgroup (compile time only)
; SGPRBlocks: 1
; VGPRBlocks: 9
; NumSGPRsForWavesPerEU: 14
; NumVGPRsForWavesPerEU: 77
; AccumOffset: 80
; Occupancy: 6
; WaveLimiterHint : 0
; COMPUTE_PGM_RSRC2:SCRATCH_EN: 0
; COMPUTE_PGM_RSRC2:USER_SGPR: 6
; COMPUTE_PGM_RSRC2:TRAP_HANDLER: 0
; COMPUTE_PGM_RSRC2:TGID_X_EN: 1
; COMPUTE_PGM_RSRC2:TGID_Y_EN: 0
; COMPUTE_PGM_RSRC2:TGID_Z_EN: 0
; COMPUTE_PGM_RSRC2:TIDIG_COMP_CNT: 0
; COMPUTE_PGM_RSRC3_GFX90A:ACCUM_OFFSET: 19
; COMPUTE_PGM_RSRC3_GFX90A:TG_SPLIT: 0
	.text
	.p2alignl 6, 3212836864
	.fill 256, 4, 3212836864
	.type	__hip_cuid_167d21b3f32cfc3f,@object ; @__hip_cuid_167d21b3f32cfc3f
	.section	.bss,"aw",@nobits
	.globl	__hip_cuid_167d21b3f32cfc3f
__hip_cuid_167d21b3f32cfc3f:
	.byte	0                               ; 0x0
	.size	__hip_cuid_167d21b3f32cfc3f, 1

	.ident	"AMD clang version 19.0.0git (https://github.com/RadeonOpenCompute/llvm-project roc-6.4.0 25133 c7fe45cf4b819c5991fe208aaa96edf142730f1d)"
	.section	".note.GNU-stack","",@progbits
	.addrsig
	.addrsig_sym __hip_cuid_167d21b3f32cfc3f
	.amdgpu_metadata
---
amdhsa.kernels:
  - .agpr_count:     0
    .args:
      - .actual_access:  read_only
        .address_space:  global
        .offset:         0
        .size:           8
        .value_kind:     global_buffer
      - .actual_access:  write_only
        .address_space:  global
        .offset:         8
        .size:           8
        .value_kind:     global_buffer
      - .offset:         16
        .size:           4
        .value_kind:     by_value
      - .offset:         24
        .size:           4
        .value_kind:     hidden_block_count_x
      - .offset:         28
        .size:           4
        .value_kind:     hidden_block_count_y
      - .offset:         32
        .size:           4
        .value_kind:     hidden_block_count_z
      - .offset:         36
        .size:           2
        .value_kind:     hidden_group_size_x
      - .offset:         38
        .size:           2
        .value_kind:     hidden_group_size_y
      - .offset:         40
        .size:           2
        .value_kind:     hidden_group_size_z
      - .offset:         42
        .size:           2
        .value_kind:     hidden_remainder_x
      - .offset:         44
        .size:           2
        .value_kind:     hidden_remainder_y
      - .offset:         46
        .size:           2
        .value_kind:     hidden_remainder_z
      - .offset:         64
        .size:           8
        .value_kind:     hidden_global_offset_x
      - .offset:         72
        .size:           8
        .value_kind:     hidden_global_offset_y
      - .offset:         80
        .size:           8
        .value_kind:     hidden_global_offset_z
      - .offset:         88
        .size:           2
        .value_kind:     hidden_grid_dims
    .group_segment_fixed_size: 0
    .kernarg_segment_align: 8
    .kernarg_segment_size: 280
    .language:       OpenCL C
    .language_version:
      - 2
      - 0
    .max_flat_workgroup_size: 1024
    .name:           _Z8svd3_SOAPKfPfi
    .private_segment_fixed_size: 0
    .sgpr_count:     14
    .sgpr_spill_count: 0
    .symbol:         _Z8svd3_SOAPKfPfi.kd
    .uniform_work_group_size: 1
    .uses_dynamic_stack: false
    .vgpr_count:     77
    .vgpr_spill_count: 0
    .wavefront_size: 64
amdhsa.target:   amdgcn-amd-amdhsa--gfx90a
amdhsa.version:
  - 1
  - 2
...

	.end_amdgpu_metadata
